;; amdgpu-corpus repo=ROCm/rocFFT kind=compiled arch=gfx906 opt=O3
	.text
	.amdgcn_target "amdgcn-amd-amdhsa--gfx906"
	.amdhsa_code_object_version 6
	.protected	fft_rtc_back_len100_factors_10_2_5_wgs_120_tpt_10_halfLds_dim3_dp_ip_CI_sbcc_twdbase6_3step_dirReg ; -- Begin function fft_rtc_back_len100_factors_10_2_5_wgs_120_tpt_10_halfLds_dim3_dp_ip_CI_sbcc_twdbase6_3step_dirReg
	.globl	fft_rtc_back_len100_factors_10_2_5_wgs_120_tpt_10_halfLds_dim3_dp_ip_CI_sbcc_twdbase6_3step_dirReg
	.p2align	8
	.type	fft_rtc_back_len100_factors_10_2_5_wgs_120_tpt_10_halfLds_dim3_dp_ip_CI_sbcc_twdbase6_3step_dirReg,@function
fft_rtc_back_len100_factors_10_2_5_wgs_120_tpt_10_halfLds_dim3_dp_ip_CI_sbcc_twdbase6_3step_dirReg: ; @fft_rtc_back_len100_factors_10_2_5_wgs_120_tpt_10_halfLds_dim3_dp_ip_CI_sbcc_twdbase6_3step_dirReg
; %bb.0:
	s_load_dwordx2 s[12:13], s[4:5], 0x50
	s_load_dwordx2 s[14:15], s[4:5], 0x0
	s_load_dwordx4 s[8:11], s[4:5], 0x10
	s_movk_i32 s0, 0xc0
	v_cmp_gt_u32_e32 vcc, s0, v0
	s_and_saveexec_b64 s[2:3], vcc
	s_cbranch_execz .LBB0_3
; %bb.1:
	s_load_dwordx2 s[0:1], s[4:5], 0x8
	v_add_co_u32_e32 v1, vcc, 0xffffff88, v0
	v_lshlrev_b32_e32 v5, 4, v0
	v_addc_co_u32_e64 v2, s[4:5], 0, -1, vcc
	s_waitcnt lgkmcnt(0)
	v_mov_b32_e32 v4, s1
	v_add_co_u32_e32 v3, vcc, s0, v5
	v_add_u32_e32 v5, 0, v5
	v_addc_co_u32_e32 v4, vcc, 0, v4, vcc
	v_add_u32_e32 v5, 0x2580, v5
	s_mov_b64 s[4:5], 0x47
	s_mov_b64 s[16:17], 0
.LBB0_2:                                ; =>This Inner Loop Header: Depth=1
	global_load_dwordx4 v[6:9], v[3:4], off
	v_add_co_u32_e32 v1, vcc, 0x78, v1
	v_addc_co_u32_e32 v2, vcc, 0, v2, vcc
	v_cmp_lt_u64_e64 s[0:1], s[4:5], v[1:2]
	v_add_co_u32_e32 v3, vcc, 0x780, v3
	v_addc_co_u32_e32 v4, vcc, 0, v4, vcc
	s_or_b64 s[16:17], s[0:1], s[16:17]
	s_waitcnt vmcnt(0)
	ds_write2_b64 v5, v[6:7], v[8:9] offset1:1
	v_add_u32_e32 v5, 0x780, v5
	s_andn2_b64 exec, exec, s[16:17]
	s_cbranch_execnz .LBB0_2
.LBB0_3:
	s_or_b64 exec, exec, s[2:3]
	s_waitcnt lgkmcnt(0)
	s_load_dwordx2 s[22:23], s[8:9], 0x8
	s_mov_b32 s7, 0
	s_waitcnt lgkmcnt(0)
	s_add_u32 s0, s22, -1
	s_addc_u32 s1, s23, -1
	s_add_u32 s2, 0, 0x55540000
	s_addc_u32 s3, 0, 0x55
	s_mul_hi_u32 s5, s2, -12
	s_add_i32 s3, s3, 0x15555500
	s_sub_i32 s5, s5, s2
	s_mul_i32 s18, s3, -12
	s_mul_i32 s4, s2, -12
	s_add_i32 s5, s5, s18
	s_mul_hi_u32 s16, s3, s4
	s_mul_i32 s17, s3, s4
	s_mul_i32 s19, s2, s5
	s_mul_hi_u32 s4, s2, s4
	s_mul_hi_u32 s18, s2, s5
	s_add_u32 s4, s4, s19
	s_addc_u32 s18, 0, s18
	s_add_u32 s4, s4, s17
	s_mul_hi_u32 s19, s3, s5
	s_addc_u32 s4, s18, s16
	s_addc_u32 s16, s19, 0
	s_mul_i32 s5, s3, s5
	s_add_u32 s4, s4, s5
	v_mov_b32_e32 v1, s4
	s_addc_u32 s5, 0, s16
	v_add_co_u32_e32 v1, vcc, s2, v1
	s_cmp_lg_u64 vcc, 0
	s_addc_u32 s2, s3, s5
	v_readfirstlane_b32 s5, v1
	s_mul_i32 s4, s0, s2
	s_mul_hi_u32 s16, s0, s5
	s_mul_hi_u32 s3, s0, s2
	s_add_u32 s4, s16, s4
	s_addc_u32 s3, 0, s3
	s_mul_hi_u32 s17, s1, s5
	s_mul_i32 s5, s1, s5
	s_add_u32 s4, s4, s5
	s_mul_hi_u32 s16, s1, s2
	s_addc_u32 s3, s3, s17
	s_addc_u32 s4, s16, 0
	s_mul_i32 s2, s1, s2
	s_add_u32 s2, s3, s2
	s_addc_u32 s3, 0, s4
	s_add_u32 s4, s2, 1
	s_addc_u32 s5, s3, 0
	s_add_u32 s16, s2, 2
	s_mul_i32 s18, s3, 12
	s_mul_hi_u32 s19, s2, 12
	s_addc_u32 s17, s3, 0
	s_add_i32 s19, s19, s18
	s_mul_i32 s18, s2, 12
	v_mov_b32_e32 v1, s18
	v_sub_co_u32_e32 v1, vcc, s0, v1
	s_cmp_lg_u64 vcc, 0
	s_subb_u32 s0, s1, s19
	v_subrev_co_u32_e32 v2, vcc, 12, v1
	s_cmp_lg_u64 vcc, 0
	s_subb_u32 s1, s0, 0
	v_readfirstlane_b32 s18, v2
	s_cmp_gt_u32 s18, 11
	s_cselect_b32 s18, -1, 0
	s_cmp_eq_u32 s1, 0
	s_cselect_b32 s1, s18, -1
	s_cmp_lg_u32 s1, 0
	s_cselect_b32 s1, s16, s4
	s_cselect_b32 s4, s17, s5
	v_readfirstlane_b32 s5, v1
	s_cmp_gt_u32 s5, 11
	s_cselect_b32 s5, -1, 0
	s_cmp_eq_u32 s0, 0
	s_cselect_b32 s0, s5, -1
	s_cmp_lg_u32 s0, 0
	s_cselect_b32 s0, s1, s2
	s_cselect_b32 s3, s4, s3
	s_add_u32 s0, s0, 1
	s_addc_u32 s1, s3, 0
	v_mov_b32_e32 v2, s1
	v_mov_b32_e32 v1, s0
	v_cmp_lt_u64_e32 vcc, s[6:7], v[1:2]
	s_mov_b64 s[16:17], 0
	s_cbranch_vccnz .LBB0_5
; %bb.4:
	v_cvt_f32_u32_e32 v1, s0
	s_sub_i32 s2, 0, s0
	s_mov_b32 s17, s7
	v_rcp_iflag_f32_e32 v1, v1
	v_mul_f32_e32 v1, 0x4f7ffffe, v1
	v_cvt_u32_f32_e32 v1, v1
	v_readfirstlane_b32 s3, v1
	s_mul_i32 s2, s2, s3
	s_mul_hi_u32 s2, s3, s2
	s_add_i32 s3, s3, s2
	s_mul_hi_u32 s2, s6, s3
	s_mul_i32 s4, s2, s0
	s_sub_i32 s4, s6, s4
	s_add_i32 s3, s2, 1
	s_sub_i32 s5, s4, s0
	s_cmp_ge_u32 s4, s0
	s_cselect_b32 s2, s3, s2
	s_cselect_b32 s4, s5, s4
	s_add_i32 s3, s2, 1
	s_cmp_ge_u32 s4, s0
	s_cselect_b32 s16, s3, s2
.LBB0_5:
	s_load_dwordx2 s[2:3], s[8:9], 0x10
	s_load_dwordx2 s[4:5], s[10:11], 0x8
	s_mov_b64 s[8:9], s[16:17]
	s_waitcnt lgkmcnt(0)
	v_mov_b32_e32 v1, s2
	v_mov_b32_e32 v2, s3
	v_cmp_lt_u64_e32 vcc, s[16:17], v[1:2]
	s_cbranch_vccnz .LBB0_7
; %bb.6:
	v_cvt_f32_u32_e32 v1, s2
	s_sub_i32 s8, 0, s2
	v_rcp_iflag_f32_e32 v1, v1
	v_mul_f32_e32 v1, 0x4f7ffffe, v1
	v_cvt_u32_f32_e32 v1, v1
	v_readfirstlane_b32 s9, v1
	s_mul_i32 s8, s8, s9
	s_mul_hi_u32 s8, s9, s8
	s_add_i32 s9, s9, s8
	s_mul_hi_u32 s8, s16, s9
	s_mul_i32 s8, s8, s2
	s_sub_i32 s8, s16, s8
	s_sub_i32 s9, s8, s2
	s_cmp_ge_u32 s8, s2
	s_cselect_b32 s8, s9, s8
	s_sub_i32 s9, s8, s2
	s_cmp_ge_u32 s8, s2
	s_cselect_b32 s8, s9, s8
.LBB0_7:
	s_mul_i32 s9, s2, s1
	s_mul_hi_u32 s17, s2, s0
	s_add_i32 s9, s17, s9
	s_mul_i32 s3, s3, s0
	s_mul_i32 s24, s2, s0
	s_add_i32 s25, s9, s3
	s_load_dwordx2 s[2:3], s[10:11], 0x0
	s_load_dwordx2 s[18:19], s[10:11], 0x10
	v_mov_b32_e32 v1, s24
	v_mov_b32_e32 v2, s25
	v_cmp_lt_u64_e32 vcc, s[6:7], v[1:2]
	s_mov_b64 s[20:21], 0
	s_cbranch_vccnz .LBB0_9
; %bb.8:
	v_cvt_f32_u32_e32 v1, s24
	s_sub_i32 s7, 0, s24
	v_rcp_iflag_f32_e32 v1, v1
	v_mul_f32_e32 v1, 0x4f7ffffe, v1
	v_cvt_u32_f32_e32 v1, v1
	v_readfirstlane_b32 s9, v1
	s_mul_i32 s7, s7, s9
	s_mul_hi_u32 s7, s9, s7
	s_add_i32 s9, s9, s7
	s_mul_hi_u32 s7, s6, s9
	s_mul_i32 s17, s7, s24
	s_sub_i32 s17, s6, s17
	s_add_i32 s9, s7, 1
	s_sub_i32 s20, s17, s24
	s_cmp_ge_u32 s17, s24
	s_cselect_b32 s7, s9, s7
	s_cselect_b32 s17, s20, s17
	s_add_i32 s9, s7, 1
	s_cmp_ge_u32 s17, s24
	s_cselect_b32 s20, s9, s7
.LBB0_9:
	s_mul_i32 s1, s16, s1
	s_mul_hi_u32 s7, s16, s0
	s_add_i32 s7, s7, s1
	s_mul_i32 s0, s16, s0
	s_sub_u32 s0, s6, s0
	s_subb_u32 s1, 0, s7
	s_mul_i32 s1, s1, 12
	s_mul_hi_u32 s6, s0, 12
	s_add_i32 s9, s6, s1
	s_mul_i32 s16, s0, 12
	s_mul_i32 s0, s4, s9
	s_mul_hi_u32 s1, s4, s16
	s_add_i32 s0, s1, s0
	s_mul_i32 s1, s5, s16
	s_add_i32 s6, s0, s1
	s_load_dwordx2 s[0:1], s[10:11], 0x18
	s_waitcnt lgkmcnt(0)
	s_mul_i32 s17, s19, s8
	s_mul_hi_u32 s19, s18, s8
	s_mul_i32 s7, s4, s16
	s_add_i32 s19, s19, s17
	s_mul_i32 s8, s18, s8
	s_add_u32 s7, s8, s7
	s_addc_u32 s8, s19, s6
	s_mul_i32 s1, s1, s20
	s_mul_hi_u32 s6, s0, s20
	s_add_i32 s1, s6, s1
	s_mov_b32 s6, 0x15555556
	v_mul_hi_u32 v87, v0, s6
	s_mul_i32 s0, s0, s20
	s_add_u32 s6, s0, s7
	s_addc_u32 s7, s1, s8
	v_mul_u32_u24_e32 v1, 12, v87
	v_sub_u32_e32 v88, v0, v1
	v_mov_b32_e32 v1, s9
	v_add_co_u32_e32 v42, vcc, s16, v88
	v_addc_co_u32_e32 v43, vcc, 0, v1, vcc
	s_add_u32 s0, s16, 12
	v_mov_b32_e32 v1, s22
	s_addc_u32 s1, s9, 0
	v_mov_b32_e32 v2, s23
	v_cmp_gt_u64_e32 vcc, s[0:1], v[1:2]
	v_cmp_le_u64_e64 s[0:1], s[0:1], v[1:2]
	s_cbranch_vccz .LBB0_15
; %bb.10:
	v_cmp_le_u64_e32 vcc, s[22:23], v[42:43]
                                        ; implicit-def: $vgpr41
                                        ; implicit-def: $vgpr45
                                        ; implicit-def: $vgpr44
                                        ; implicit-def: $vgpr46
	s_and_saveexec_b64 s[8:9], vcc
	s_xor_b64 s[8:9], exec, s[8:9]
; %bb.11:
	v_add_u32_e32 v41, 10, v87
	v_add_u32_e32 v45, 20, v87
	;; [unrolled: 1-line block ×4, first 2 shown]
; %bb.12:
	s_or_saveexec_b64 s[8:9], s[8:9]
                                        ; implicit-def: $vgpr9_vgpr10
                                        ; implicit-def: $vgpr1_vgpr2
                                        ; implicit-def: $vgpr17_vgpr18
                                        ; implicit-def: $vgpr5_vgpr6
                                        ; implicit-def: $vgpr29_vgpr30
                                        ; implicit-def: $vgpr13_vgpr14
                                        ; implicit-def: $vgpr33_vgpr34
                                        ; implicit-def: $vgpr21_vgpr22
                                        ; implicit-def: $vgpr37_vgpr38
                                        ; implicit-def: $vgpr25_vgpr26
	s_xor_b64 exec, exec, s[8:9]
	s_cbranch_execz .LBB0_14
; %bb.13:
	v_mad_u64_u32 v[1:2], s[10:11], s4, v88, 0
	v_mad_u64_u32 v[3:4], s[10:11], s2, v87, 0
	v_add_u32_e32 v41, 10, v87
	v_add_u32_e32 v45, 20, v87
	v_mad_u64_u32 v[5:6], s[10:11], s5, v88, v[2:3]
	v_mov_b32_e32 v2, v4
	v_mad_u64_u32 v[6:7], s[10:11], s3, v87, v[2:3]
	s_lshl_b64 s[10:11], s[6:7], 4
	s_add_u32 s16, s12, s10
	s_addc_u32 s10, s13, s11
	v_mov_b32_e32 v2, v5
	v_mov_b32_e32 v4, v6
	;; [unrolled: 1-line block ×3, first 2 shown]
	v_mad_u64_u32 v[5:6], s[10:11], s2, v41, 0
	v_lshlrev_b64 v[1:2], 4, v[1:2]
	v_add_u32_e32 v44, 30, v87
	v_add_co_u32_e32 v51, vcc, s16, v1
	v_addc_co_u32_e32 v52, vcc, v7, v2, vcc
	v_lshlrev_b64 v[1:2], 4, v[3:4]
	v_mov_b32_e32 v3, v6
	v_mad_u64_u32 v[3:4], s[10:11], s3, v41, v[3:4]
	v_add_co_u32_e32 v7, vcc, v51, v1
	v_mov_b32_e32 v6, v3
	v_addc_co_u32_e32 v8, vcc, v52, v2, vcc
	v_lshlrev_b64 v[1:2], 4, v[5:6]
	v_mad_u64_u32 v[5:6], s[10:11], s2, v45, 0
	v_add_co_u32_e32 v13, vcc, v51, v1
	v_mov_b32_e32 v1, v6
	v_mad_u64_u32 v[15:16], s[10:11], s3, v45, v[1:2]
	v_mad_u64_u32 v[16:17], s[10:11], s2, v44, 0
	v_addc_co_u32_e32 v14, vcc, v52, v2, vcc
	global_load_dwordx4 v[9:12], v[7:8], off
	global_load_dwordx4 v[1:4], v[13:14], off
	v_mov_b32_e32 v7, v17
	v_mad_u64_u32 v[7:8], s[10:11], s3, v44, v[7:8]
	v_mov_b32_e32 v6, v15
	v_lshlrev_b64 v[5:6], 4, v[5:6]
	v_mov_b32_e32 v17, v7
	v_add_co_u32_e32 v13, vcc, v51, v5
	v_add_u32_e32 v46, 40, v87
	v_addc_co_u32_e32 v14, vcc, v52, v6, vcc
	v_lshlrev_b64 v[5:6], 4, v[16:17]
	v_mad_u64_u32 v[15:16], s[10:11], s2, v46, 0
	v_add_co_u32_e32 v21, vcc, v51, v5
	v_mov_b32_e32 v5, v16
	v_add_u32_e32 v25, 50, v87
	v_mad_u64_u32 v[16:17], s[10:11], s3, v46, v[5:6]
	v_mad_u64_u32 v[23:24], s[10:11], s2, v25, 0
	v_addc_co_u32_e32 v22, vcc, v52, v6, vcc
	global_load_dwordx4 v[17:20], v[13:14], off
	global_load_dwordx4 v[5:8], v[21:22], off
	v_lshlrev_b64 v[13:14], 4, v[15:16]
	v_mov_b32_e32 v15, v24
	v_mad_u64_u32 v[15:16], s[10:11], s3, v25, v[15:16]
	v_add_co_u32_e32 v21, vcc, v51, v13
	v_mov_b32_e32 v24, v15
	v_add_u32_e32 v15, 60, v87
	v_addc_co_u32_e32 v22, vcc, v52, v14, vcc
	v_lshlrev_b64 v[13:14], 4, v[23:24]
	v_mad_u64_u32 v[23:24], s[10:11], s2, v15, 0
	v_add_co_u32_e32 v25, vcc, v51, v13
	v_mov_b32_e32 v13, v24
	v_mad_u64_u32 v[27:28], s[10:11], s3, v15, v[13:14]
	v_add_u32_e32 v28, 0x46, v87
	v_mad_u64_u32 v[33:34], s[10:11], s2, v28, 0
	v_mov_b32_e32 v24, v27
	v_addc_co_u32_e32 v26, vcc, v52, v14, vcc
	global_load_dwordx4 v[29:32], v[21:22], off
	global_load_dwordx4 v[13:16], v[25:26], off
	v_lshlrev_b64 v[21:22], 4, v[23:24]
	v_mov_b32_e32 v23, v34
	v_mad_u64_u32 v[23:24], s[10:11], s3, v28, v[23:24]
	v_add_co_u32_e32 v25, vcc, v51, v21
	v_mov_b32_e32 v34, v23
	v_or_b32_e32 v23, 0x50, v87
	v_mad_u64_u32 v[27:28], s[10:11], s2, v23, 0
	v_addc_co_u32_e32 v26, vcc, v52, v22, vcc
	v_lshlrev_b64 v[21:22], 4, v[33:34]
	v_add_co_u32_e32 v37, vcc, v51, v21
	v_mov_b32_e32 v21, v28
	v_mad_u64_u32 v[39:40], s[10:11], s3, v23, v[21:22]
	v_add_u32_e32 v40, 0x5a, v87
	v_mad_u64_u32 v[47:48], s[10:11], s2, v40, 0
	v_mov_b32_e32 v28, v39
	v_addc_co_u32_e32 v38, vcc, v52, v22, vcc
	global_load_dwordx4 v[33:36], v[25:26], off
	global_load_dwordx4 v[21:24], v[37:38], off
	v_lshlrev_b64 v[25:26], 4, v[27:28]
	v_mov_b32_e32 v27, v48
	v_mad_u64_u32 v[27:28], s[10:11], s3, v40, v[27:28]
	v_add_co_u32_e32 v49, vcc, v51, v25
	v_mov_b32_e32 v48, v27
	v_addc_co_u32_e32 v50, vcc, v52, v26, vcc
	v_lshlrev_b64 v[25:26], 4, v[47:48]
	v_add_co_u32_e32 v47, vcc, v51, v25
	v_addc_co_u32_e32 v48, vcc, v52, v26, vcc
	global_load_dwordx4 v[37:40], v[49:50], off
	global_load_dwordx4 v[25:28], v[47:48], off
.LBB0_14:
	s_or_b64 exec, exec, s[8:9]
	s_mov_b64 s[8:9], 0
	s_branch .LBB0_16
.LBB0_15:
	s_mov_b64 s[8:9], -1
                                        ; implicit-def: $vgpr9_vgpr10
                                        ; implicit-def: $vgpr1_vgpr2
                                        ; implicit-def: $vgpr17_vgpr18
                                        ; implicit-def: $vgpr5_vgpr6
                                        ; implicit-def: $vgpr29_vgpr30
                                        ; implicit-def: $vgpr13_vgpr14
                                        ; implicit-def: $vgpr41
                                        ; implicit-def: $vgpr45
                                        ; implicit-def: $vgpr44
                                        ; implicit-def: $vgpr46
                                        ; implicit-def: $vgpr33_vgpr34
                                        ; implicit-def: $vgpr21_vgpr22
                                        ; implicit-def: $vgpr37_vgpr38
                                        ; implicit-def: $vgpr25_vgpr26
.LBB0_16:
	s_andn2_b64 vcc, exec, s[8:9]
	v_add_u32_e32 v91, 20, v87
	v_add_u32_e32 v90, 40, v87
	;; [unrolled: 1-line block ×3, first 2 shown]
	s_cbranch_vccnz .LBB0_18
; %bb.17:
	s_waitcnt vmcnt(8)
	v_mad_u64_u32 v[1:2], s[8:9], s4, v88, 0
	v_mad_u64_u32 v[3:4], s[8:9], s2, v87, 0
	v_add_u32_e32 v41, 10, v87
	v_add_u32_e32 v44, 30, v87
	s_waitcnt vmcnt(6)
	v_mad_u64_u32 v[5:6], s[8:9], s5, v88, v[2:3]
	v_mov_b32_e32 v2, v4
	v_mad_u64_u32 v[6:7], s[8:9], s3, v87, v[2:3]
	s_lshl_b64 s[8:9], s[6:7], 4
	s_add_u32 s10, s12, s8
	s_addc_u32 s8, s13, s9
	v_mov_b32_e32 v2, v5
	v_mov_b32_e32 v4, v6
	;; [unrolled: 1-line block ×3, first 2 shown]
	v_mad_u64_u32 v[5:6], s[8:9], s2, v41, 0
	v_lshlrev_b64 v[1:2], 4, v[1:2]
	s_waitcnt vmcnt(0)
	v_add_u32_e32 v25, 50, v87
	v_add_co_u32_e32 v49, vcc, s10, v1
	v_addc_co_u32_e32 v50, vcc, v7, v2, vcc
	v_lshlrev_b64 v[1:2], 4, v[3:4]
	v_mov_b32_e32 v3, v6
	v_mad_u64_u32 v[3:4], s[8:9], s3, v41, v[3:4]
	v_add_co_u32_e32 v7, vcc, v49, v1
	v_mov_b32_e32 v6, v3
	v_addc_co_u32_e32 v8, vcc, v50, v2, vcc
	v_lshlrev_b64 v[1:2], 4, v[5:6]
	v_mad_u64_u32 v[5:6], s[8:9], s2, v91, 0
	v_add_co_u32_e32 v13, vcc, v49, v1
	v_mov_b32_e32 v1, v6
	v_mad_u64_u32 v[15:16], s[8:9], s3, v91, v[1:2]
	v_mad_u64_u32 v[16:17], s[8:9], s2, v44, 0
	v_addc_co_u32_e32 v14, vcc, v50, v2, vcc
	global_load_dwordx4 v[9:12], v[7:8], off
	global_load_dwordx4 v[1:4], v[13:14], off
	v_mov_b32_e32 v7, v17
	v_mad_u64_u32 v[7:8], s[8:9], s3, v44, v[7:8]
	v_mov_b32_e32 v6, v15
	v_lshlrev_b64 v[5:6], 4, v[5:6]
	v_mov_b32_e32 v17, v7
	v_add_co_u32_e32 v13, vcc, v49, v5
	v_addc_co_u32_e32 v14, vcc, v50, v6, vcc
	v_lshlrev_b64 v[5:6], 4, v[16:17]
	v_mad_u64_u32 v[15:16], s[8:9], s2, v90, 0
	v_add_co_u32_e32 v21, vcc, v49, v5
	v_mov_b32_e32 v5, v16
	v_mad_u64_u32 v[16:17], s[8:9], s3, v90, v[5:6]
	v_mad_u64_u32 v[23:24], s[8:9], s2, v25, 0
	v_addc_co_u32_e32 v22, vcc, v50, v6, vcc
	global_load_dwordx4 v[17:20], v[13:14], off
	global_load_dwordx4 v[5:8], v[21:22], off
	v_lshlrev_b64 v[13:14], 4, v[15:16]
	v_mov_b32_e32 v15, v24
	v_mad_u64_u32 v[15:16], s[8:9], s3, v25, v[15:16]
	v_add_co_u32_e32 v21, vcc, v49, v13
	v_mov_b32_e32 v24, v15
	v_addc_co_u32_e32 v22, vcc, v50, v14, vcc
	v_lshlrev_b64 v[13:14], 4, v[23:24]
	v_mad_u64_u32 v[23:24], s[8:9], s2, v89, 0
	v_add_co_u32_e32 v25, vcc, v49, v13
	v_mov_b32_e32 v13, v24
	v_mad_u64_u32 v[27:28], s[8:9], s3, v89, v[13:14]
	v_add_u32_e32 v28, 0x46, v87
	v_mad_u64_u32 v[33:34], s[8:9], s2, v28, 0
	v_mov_b32_e32 v24, v27
	v_addc_co_u32_e32 v26, vcc, v50, v14, vcc
	global_load_dwordx4 v[29:32], v[21:22], off
	global_load_dwordx4 v[13:16], v[25:26], off
	v_lshlrev_b64 v[21:22], 4, v[23:24]
	v_mov_b32_e32 v23, v34
	v_mad_u64_u32 v[23:24], s[8:9], s3, v28, v[23:24]
	v_add_co_u32_e32 v25, vcc, v49, v21
	v_mov_b32_e32 v34, v23
	v_or_b32_e32 v23, 0x50, v87
	v_mad_u64_u32 v[27:28], s[8:9], s2, v23, 0
	v_addc_co_u32_e32 v26, vcc, v50, v22, vcc
	v_lshlrev_b64 v[21:22], 4, v[33:34]
	v_add_co_u32_e32 v37, vcc, v49, v21
	v_mov_b32_e32 v21, v28
	v_mad_u64_u32 v[39:40], s[8:9], s3, v23, v[21:22]
	v_add_u32_e32 v40, 0x5a, v87
	v_mad_u64_u32 v[45:46], s[8:9], s2, v40, 0
	v_mov_b32_e32 v28, v39
	v_addc_co_u32_e32 v38, vcc, v50, v22, vcc
	global_load_dwordx4 v[33:36], v[25:26], off
	global_load_dwordx4 v[21:24], v[37:38], off
	v_lshlrev_b64 v[25:26], 4, v[27:28]
	v_mov_b32_e32 v27, v46
	v_mad_u64_u32 v[27:28], s[8:9], s3, v40, v[27:28]
	v_add_co_u32_e32 v47, vcc, v49, v25
	v_mov_b32_e32 v46, v27
	v_addc_co_u32_e32 v48, vcc, v50, v26, vcc
	v_lshlrev_b64 v[25:26], 4, v[45:46]
	v_add_co_u32_e32 v45, vcc, v49, v25
	v_addc_co_u32_e32 v46, vcc, v50, v26, vcc
	global_load_dwordx4 v[37:40], v[47:48], off
	global_load_dwordx4 v[25:28], v[45:46], off
	v_mov_b32_e32 v46, v90
	v_mov_b32_e32 v45, v91
.LBB0_18:
	s_waitcnt vmcnt(7)
	v_add_f64 v[47:48], v[17:18], v[9:10]
	v_add_f64 v[49:50], v[19:20], v[11:12]
	s_waitcnt vmcnt(3)
	v_add_f64 v[51:52], v[33:34], v[29:30]
	s_waitcnt vmcnt(1)
	v_add_f64 v[63:64], v[19:20], -v[39:40]
	s_mov_b32 s10, 0x134454ff
	s_mov_b32 s11, 0xbfee6f0e
	;; [unrolled: 1-line block ×4, first 2 shown]
	v_add_f64 v[47:48], v[29:30], v[47:48]
	v_add_f64 v[49:50], v[31:32], v[49:50]
	v_fma_f64 v[51:52], v[51:52], -0.5, v[9:10]
	v_add_f64 v[53:54], v[31:32], -v[35:36]
	v_add_f64 v[55:56], v[17:18], -v[29:30]
	;; [unrolled: 1-line block ×3, first 2 shown]
	v_add_f64 v[59:60], v[35:36], v[31:32]
	v_add_f64 v[29:30], v[29:30], -v[33:34]
	v_add_f64 v[47:48], v[33:34], v[47:48]
	v_add_f64 v[49:50], v[35:36], v[49:50]
	v_add_f64 v[61:62], v[19:20], -v[31:32]
	v_add_f64 v[31:32], v[31:32], -v[19:20]
	v_add_f64 v[65:66], v[37:38], v[17:18]
	v_add_f64 v[17:18], v[17:18], -v[37:38]
	v_add_f64 v[19:20], v[39:40], v[19:20]
	v_add_f64 v[67:68], v[37:38], -v[33:34]
	v_add_f64 v[33:34], v[33:34], -v[37:38]
	;; [unrolled: 1-line block ×4, first 2 shown]
	v_add_f64 v[37:38], v[37:38], v[47:48]
	v_add_f64 v[39:40], v[39:40], v[49:50]
	v_fma_f64 v[47:48], v[63:64], s[10:11], v[51:52]
	v_fma_f64 v[49:50], v[63:64], s[16:17], v[51:52]
	s_mov_b32 s20, 0x4755a5e
	s_mov_b32 s21, 0xbfe2cf23
	;; [unrolled: 1-line block ×4, first 2 shown]
	v_fma_f64 v[9:10], v[65:66], -0.5, v[9:10]
	v_add_f64 v[51:52], v[67:68], v[55:56]
	v_fma_f64 v[47:48], v[53:54], s[20:21], v[47:48]
	v_fma_f64 v[49:50], v[53:54], s[18:19], v[49:50]
	v_fma_f64 v[55:56], v[59:60], -0.5, v[11:12]
	v_fma_f64 v[11:12], v[19:20], -0.5, v[11:12]
	s_mov_b32 s8, 0x372fe950
	s_mov_b32 s9, 0x3fd3c6ef
	v_fma_f64 v[19:20], v[53:54], s[16:17], v[9:10]
	v_fma_f64 v[9:10], v[53:54], s[10:11], v[9:10]
	;; [unrolled: 1-line block ×8, first 2 shown]
	v_add_f64 v[33:34], v[33:34], v[57:58]
	v_fma_f64 v[19:20], v[63:64], s[20:21], v[19:20]
	v_fma_f64 v[9:10], v[63:64], s[18:19], v[9:10]
	v_add_f64 v[57:58], v[69:70], v[61:62]
	v_fma_f64 v[51:52], v[29:30], s[18:19], v[51:52]
	v_fma_f64 v[29:30], v[29:30], s[20:21], v[53:54]
	v_add_f64 v[53:54], v[21:22], v[13:14]
	v_fma_f64 v[55:56], v[17:18], s[18:19], v[55:56]
	v_add_f64 v[31:32], v[35:36], v[31:32]
	v_fma_f64 v[11:12], v[17:18], s[20:21], v[11:12]
	v_fma_f64 v[19:20], v[33:34], s[8:9], v[19:20]
	;; [unrolled: 1-line block ×5, first 2 shown]
	v_fma_f64 v[33:34], v[53:54], -0.5, v[1:2]
	s_waitcnt vmcnt(0)
	v_add_f64 v[53:54], v[7:8], -v[27:28]
	v_add_f64 v[57:58], v[25:26], v[5:6]
	v_add_f64 v[17:18], v[5:6], -v[13:14]
	v_add_f64 v[35:36], v[25:26], -v[21:22]
	v_fma_f64 v[55:56], v[31:32], s[8:9], v[55:56]
	v_fma_f64 v[11:12], v[31:32], s[8:9], v[11:12]
	v_add_f64 v[31:32], v[23:24], v[15:16]
	v_add_f64 v[59:60], v[27:28], v[7:8]
	v_fma_f64 v[61:62], v[53:54], s[10:11], v[33:34]
	v_add_f64 v[63:64], v[15:16], -v[23:24]
	v_fma_f64 v[33:34], v[53:54], s[16:17], v[33:34]
	v_fma_f64 v[57:58], v[57:58], -0.5, v[1:2]
	v_add_f64 v[17:18], v[35:36], v[17:18]
	v_add_f64 v[1:2], v[5:6], v[1:2]
	v_fma_f64 v[31:32], v[31:32], -0.5, v[3:4]
	v_fma_f64 v[35:36], v[59:60], -0.5, v[3:4]
	v_add_f64 v[3:4], v[7:8], v[3:4]
	v_add_f64 v[65:66], v[13:14], -v[21:22]
	v_fma_f64 v[59:60], v[63:64], s[20:21], v[61:62]
	v_fma_f64 v[33:34], v[63:64], s[18:19], v[33:34]
	v_fma_f64 v[61:62], v[63:64], s[16:17], v[57:58]
	v_fma_f64 v[57:58], v[63:64], s[10:11], v[57:58]
	v_add_f64 v[63:64], v[5:6], -v[25:26]
	v_add_f64 v[1:2], v[13:14], v[1:2]
	v_add_f64 v[3:4], v[15:16], v[3:4]
	v_add_f64 v[5:6], v[13:14], -v[5:6]
	v_add_f64 v[13:14], v[7:8], -v[15:16]
	;; [unrolled: 1-line block ×4, first 2 shown]
	v_fma_f64 v[71:72], v[65:66], s[10:11], v[35:36]
	v_add_f64 v[15:16], v[27:28], -v[23:24]
	v_fma_f64 v[69:70], v[63:64], s[16:17], v[31:32]
	v_add_f64 v[1:2], v[21:22], v[1:2]
	v_add_f64 v[3:4], v[23:24], v[3:4]
	v_add_f64 v[21:22], v[21:22], -v[25:26]
	v_fma_f64 v[23:24], v[65:66], s[16:17], v[35:36]
	v_fma_f64 v[31:32], v[63:64], s[10:11], v[31:32]
	v_add_f64 v[7:8], v[67:68], v[7:8]
	v_fma_f64 v[35:36], v[63:64], s[18:19], v[71:72]
	v_add_f64 v[13:14], v[15:16], v[13:14]
	v_fma_f64 v[15:16], v[65:66], s[18:19], v[69:70]
	v_fma_f64 v[59:60], v[17:18], s[8:9], v[59:60]
	v_add_f64 v[5:6], v[21:22], v[5:6]
	v_fma_f64 v[21:22], v[63:64], s[20:21], v[23:24]
	v_fma_f64 v[31:32], v[65:66], s[20:21], v[31:32]
	;; [unrolled: 1-line block ×6, first 2 shown]
	v_add_f64 v[1:2], v[25:26], v[1:2]
	v_fma_f64 v[17:18], v[17:18], s[8:9], v[33:34]
	v_fma_f64 v[7:8], v[7:8], s[8:9], v[21:22]
	;; [unrolled: 1-line block ×4, first 2 shown]
	v_mul_f64 v[25:26], v[35:36], s[10:11]
	v_fma_f64 v[5:6], v[5:6], s[8:9], v[53:54]
	v_mul_f64 v[23:24], v[15:16], s[20:21]
	s_mov_b32 s24, 0x9b97f4a8
	s_mov_b32 s27, 0xbfd3c6ef
	v_mul_f64 v[31:32], v[7:8], s[10:11]
	s_mov_b32 s26, s8
	v_mul_f64 v[33:34], v[13:14], s[20:21]
	v_mul_f64 v[53:54], v[59:60], s[18:19]
	s_mov_b32 s25, 0x3fe9e377
	v_fma_f64 v[25:26], v[21:22], s[8:9], v[25:26]
	v_mul_f64 v[21:22], v[21:22], s[16:17]
	s_mov_b32 s29, 0xbfe9e377
	v_mul_f64 v[7:8], v[7:8], s[26:27]
	s_mov_b32 s28, s24
	v_mul_f64 v[13:14], v[13:14], s[28:29]
	v_fma_f64 v[23:24], v[59:60], s[24:25], v[23:24]
	v_fma_f64 v[31:32], v[5:6], s[26:27], v[31:32]
	v_add_f64 v[3:4], v[27:28], v[3:4]
	v_fma_f64 v[33:34], v[17:18], s[28:29], v[33:34]
	v_fma_f64 v[15:16], v[15:16], s[24:25], v[53:54]
	v_fma_f64 v[21:22], v[35:36], s[8:9], v[21:22]
	v_fma_f64 v[5:6], v[5:6], s[16:17], v[7:8]
	v_fma_f64 v[13:14], v[17:18], s[18:19], v[13:14]
	v_add_f64 v[27:28], v[1:2], v[37:38]
	v_add_f64 v[53:54], v[47:48], v[23:24]
	;; [unrolled: 1-line block ×5, first 2 shown]
	v_add_f64 v[1:2], v[37:38], -v[1:2]
	v_add_f64 v[37:38], v[3:4], v[39:40]
	v_add_f64 v[23:24], v[47:48], -v[23:24]
	v_add_f64 v[47:48], v[51:52], v[15:16]
	;; [unrolled: 2-line block ×5, first 2 shown]
	v_add_f64 v[39:40], v[39:40], -v[3:4]
	v_add_f64 v[15:16], v[51:52], -v[15:16]
	;; [unrolled: 1-line block ×5, first 2 shown]
	v_mul_u32_u24_e32 v3, 0x3c0, v87
	v_lshlrev_b32_e32 v68, 3, v88
	v_add3_u32 v29, 0, v3, v68
	s_movk_i32 s24, 0xfca0
	ds_write2_b64 v29, v[27:28], v[53:54] offset1:12
	ds_write2_b64 v29, v[35:36], v[7:8] offset0:24 offset1:36
	ds_write2_b64 v29, v[17:18], v[1:2] offset0:48 offset1:60
	;; [unrolled: 1-line block ×4, first 2 shown]
	v_mad_i32_i24 v92, v87, s24, v29
	v_mul_i32_i24_e32 v5, 0x60, v41
	v_mul_i32_i24_e32 v17, 0x60, v44
	v_add_u32_e32 v33, 0x1000, v92
	v_add3_u32 v95, 0, v5, v68
	v_mul_i32_i24_e32 v5, 0x60, v45
	v_add_u32_e32 v63, 0x1800, v92
	v_add3_u32 v69, 0, v17, v68
	v_mul_i32_i24_e32 v17, 0x60, v46
	s_mov_b32 s24, 0xcccccccd
	s_waitcnt lgkmcnt(0)
	s_barrier
	ds_read_b64 v[9:10], v92
	ds_read2_b64 v[1:4], v33 offset0:88 offset1:208
	v_add3_u32 v93, 0, v5, v68
	ds_read2_b64 v[5:8], v63 offset0:72 offset1:192
	v_add3_u32 v94, 0, v17, v68
	ds_read_b64 v[51:52], v69
	ds_read_b64 v[53:54], v94
	;; [unrolled: 1-line block ×4, first 2 shown]
	ds_read_b64 v[59:60], v92 offset:8640
	s_waitcnt lgkmcnt(0)
	s_barrier
	ds_write2_b64 v29, v[37:38], v[47:48] offset1:12
	ds_write2_b64 v29, v[25:26], v[31:32] offset0:24 offset1:36
	ds_write2_b64 v29, v[49:50], v[39:40] offset0:48 offset1:60
	;; [unrolled: 1-line block ×4, first 2 shown]
	v_mul_hi_u32 v12, v41, s24
	s_mov_b32 s25, 0x1999999a
	v_mul_hi_u32 v11, v87, s25
	v_mul_hi_u32 v15, v45, s24
	v_lshrrev_b32_e32 v40, 3, v12
	v_mul_lo_u32 v13, v40, 10
	v_mov_b32_e32 v35, 0
	v_mul_u32_u24_e32 v11, 10, v11
	v_sub_u32_e32 v11, v87, v11
	v_sub_u32_e32 v34, v41, v13
	v_lshlrev_b64 v[13:14], 4, v[34:35]
	v_lshlrev_b32_e32 v23, 4, v11
	v_mov_b32_e32 v31, s15
	v_add_co_u32_e32 v21, vcc, s14, v13
	v_lshrrev_b32_e32 v70, 3, v15
	s_waitcnt lgkmcnt(0)
	s_barrier
	v_addc_co_u32_e32 v22, vcc, v31, v14, vcc
	v_mul_lo_u32 v24, v70, 10
	global_load_dwordx4 v[13:16], v23, s[14:15]
	global_load_dwordx4 v[17:20], v[21:22], off
	v_mul_hi_u32 v23, v44, s24
	v_mov_b32_e32 v49, v35
	v_sub_u32_e32 v48, v45, v24
	v_lshlrev_b64 v[21:22], 4, v[48:49]
	v_lshrrev_b32_e32 v71, 3, v23
	v_mul_lo_u32 v25, v71, 10
	v_add_co_u32_e32 v21, vcc, s14, v21
	v_addc_co_u32_e32 v22, vcc, v31, v22, vcc
	v_mul_hi_u32 v27, v46, s24
	global_load_dwordx4 v[21:24], v[21:22], off
	v_sub_u32_e32 v49, v44, v25
	v_mov_b32_e32 v50, v35
	v_lshlrev_b64 v[25:26], 4, v[49:50]
	v_lshrrev_b32_e32 v50, 3, v27
	v_mul_lo_u32 v29, v50, 10
	v_mov_b32_e32 v62, v35
	v_add_co_u32_e32 v25, vcc, s14, v25
	v_sub_u32_e32 v61, v46, v29
	v_lshlrev_b64 v[29:30], 4, v[61:62]
	v_addc_co_u32_e32 v26, vcc, v31, v26, vcc
	global_load_dwordx4 v[25:28], v[25:26], off
	v_add_co_u32_e32 v29, vcc, s14, v29
	v_addc_co_u32_e32 v30, vcc, v31, v30, vcc
	global_load_dwordx4 v[29:32], v[29:30], off
	ds_read2_b64 v[36:39], v33 offset0:88 offset1:208
	ds_read2_b64 v[44:47], v63 offset0:72 offset1:192
	s_mov_b32 s24, 0x2222223
	v_mul_hi_u32 v0, v0, s24
	s_movk_i32 s26, 0x60
	v_cmp_gt_u64_e32 vcc, s[22:23], v[42:43]
	v_mad_u32_u24 v0, v0, 20, v11
	v_mul_i32_i24_e32 v0, 0x60, v0
	s_or_b64 s[0:1], s[0:1], vcc
	s_waitcnt vmcnt(4) lgkmcnt(1)
	v_mul_f64 v[62:63], v[36:37], v[15:16]
	v_mul_f64 v[15:16], v[1:2], v[15:16]
	s_waitcnt vmcnt(3)
	v_mul_f64 v[64:65], v[38:39], v[19:20]
	v_mul_f64 v[19:20], v[3:4], v[19:20]
	v_fma_f64 v[1:2], v[1:2], v[13:14], v[62:63]
	v_fma_f64 v[13:14], v[36:37], v[13:14], -v[15:16]
	v_fma_f64 v[3:4], v[3:4], v[17:18], v[64:65]
	v_fma_f64 v[15:16], v[38:39], v[17:18], -v[19:20]
	s_waitcnt vmcnt(2) lgkmcnt(0)
	v_mul_f64 v[66:67], v[44:45], v[23:24]
	v_add_f64 v[1:2], v[9:10], -v[1:2]
	v_fma_f64 v[17:18], v[5:6], v[21:22], v[66:67]
	v_mul_f64 v[5:6], v[5:6], v[23:24]
	ds_read_b64 v[23:24], v92 offset:8640
	v_fma_f64 v[9:10], v[9:10], 2.0, -v[1:2]
	ds_read_b64 v[38:39], v93
	ds_read_b64 v[62:63], v95
	;; [unrolled: 1-line block ×3, first 2 shown]
	s_waitcnt vmcnt(1)
	v_mul_f64 v[19:20], v[46:47], v[27:28]
	v_mul_f64 v[27:28], v[7:8], v[27:28]
	v_fma_f64 v[21:22], v[44:45], v[21:22], -v[5:6]
	s_waitcnt vmcnt(0) lgkmcnt(3)
	v_mul_f64 v[64:65], v[23:24], v[31:32]
	v_mul_f64 v[31:32], v[59:60], v[31:32]
	s_waitcnt lgkmcnt(0)
	v_add_f64 v[13:14], v[36:37], -v[13:14]
	v_fma_f64 v[5:6], v[7:8], v[25:26], v[19:20]
	v_fma_f64 v[19:20], v[46:47], v[25:26], -v[27:28]
	v_mad_u64_u32 v[44:45], s[24:25], v50, 20, v[61:62]
	v_add_f64 v[46:47], v[38:39], -v[21:22]
	v_fma_f64 v[7:8], v[59:60], v[29:30], v[64:65]
	v_add3_u32 v59, 0, v0, v68
	v_fma_f64 v[23:24], v[23:24], v[29:30], -v[31:32]
	ds_read_b64 v[25:26], v69
	ds_read_b64 v[31:32], v94
	s_waitcnt lgkmcnt(0)
	s_barrier
	ds_write2_b64 v59, v[9:10], v[1:2] offset1:120
	v_mad_u64_u32 v[0:1], s[24:25], v40, 20, v[34:35]
	v_add_f64 v[1:2], v[57:58], -v[3:4]
	v_add_f64 v[3:4], v[55:56], -v[17:18]
	;; [unrolled: 1-line block ×4, first 2 shown]
	v_mul_lo_u32 v0, v0, s26
	v_mad_u64_u32 v[9:10], s[24:25], v70, 20, v[48:49]
	v_fma_f64 v[33:34], v[36:37], 2.0, -v[13:14]
	v_fma_f64 v[10:11], v[57:58], 2.0, -v[1:2]
	;; [unrolled: 1-line block ×3, first 2 shown]
	v_add3_u32 v40, 0, v0, v68
	v_mul_lo_u32 v0, v9, s26
	v_mad_u64_u32 v[36:37], s[24:25], v71, 20, v[49:50]
	v_fma_f64 v[27:28], v[51:52], 2.0, -v[5:6]
	v_fma_f64 v[29:30], v[53:54], 2.0, -v[7:8]
	v_add3_u32 v52, 0, v0, v68
	v_mul_lo_u32 v0, v44, s26
	v_add_f64 v[44:45], v[62:63], -v[15:16]
	ds_write2_b64 v40, v[10:11], v[1:2] offset1:120
	ds_write2_b64 v52, v[17:18], v[3:4] offset1:120
	v_add_f64 v[18:19], v[25:26], -v[19:20]
	v_mul_lo_u32 v1, v36, s26
	v_add_f64 v[48:49], v[31:32], -v[23:24]
	v_add3_u32 v54, 0, v0, v68
	v_add_u32_e32 v36, 0x1400, v92
	v_add3_u32 v53, 0, v1, v68
	ds_write2_b64 v53, v[27:28], v[5:6] offset1:120
	ds_write2_b64 v54, v[29:30], v[7:8] offset1:120
	v_add_u32_e32 v30, 0x1c00, v92
	v_fma_f64 v[50:51], v[62:63], 2.0, -v[44:45]
	s_waitcnt lgkmcnt(0)
	s_barrier
	ds_read_b64 v[28:29], v92
	ds_read2_b64 v[0:3], v36 offset0:80 offset1:200
	ds_read2_b64 v[4:7], v30 offset0:64 offset1:184
	ds_read_b64 v[20:21], v94
	ds_read_b64 v[22:23], v93
	ds_read_b64 v[16:17], v95
	v_add_u32_e32 v37, 0xb00, v92
	v_fma_f64 v[38:39], v[38:39], 2.0, -v[46:47]
	ds_read2_b64 v[8:11], v37 offset0:8 offset1:248
	v_fma_f64 v[24:25], v[25:26], 2.0, -v[18:19]
	v_fma_f64 v[26:27], v[31:32], 2.0, -v[48:49]
	s_waitcnt lgkmcnt(0)
	s_barrier
	ds_write2_b64 v59, v[33:34], v[13:14] offset1:120
	ds_write2_b64 v40, v[50:51], v[44:45] offset1:120
	;; [unrolled: 1-line block ×5, first 2 shown]
	s_waitcnt lgkmcnt(0)
	s_barrier
	s_and_saveexec_b64 s[22:23], s[0:1]
	s_cbranch_execz .LBB0_20
; %bb.19:
	v_lshrrev_b32_e32 v40, 4, v12
	v_mul_lo_u32 v12, v40, 20
	s_movk_i32 s1, 0xffec
	s_add_i32 s0, 0, 0x2580
	v_mul_lo_u32 v38, v42, s1
	v_sub_u32_e32 v34, v41, v12
	v_add_u32_e32 v12, 0x50, v34
	v_mul_lo_u32 v98, v12, v42
	v_mul_lo_u32 v97, v34, v42
	v_lshlrev_b32_e32 v105, 6, v87
	v_lshlrev_b32_e32 v34, 2, v34
	v_lshrrev_b32_e32 v13, 2, v98
	v_and_b32_e32 v12, 63, v98
	v_and_b32_e32 v18, 0x3f0, v13
	v_lshl_add_u32 v12, v12, 4, 0
	v_add_u32_e32 v18, s0, v18
	ds_read_b128 v[12:15], v12 offset:9600
	ds_read_b128 v[24:27], v18 offset:1024
	v_add_u32_e32 v101, v98, v38
	v_and_b32_e32 v18, 63, v101
	v_lshl_add_u32 v31, v18, 4, 0
	ds_read_b128 v[43:46], v31 offset:9600
	s_waitcnt lgkmcnt(1)
	v_mul_f64 v[18:19], v[14:15], v[26:27]
	v_mul_f64 v[26:27], v[12:13], v[26:27]
	v_lshrrev_b32_e32 v31, 2, v101
	v_and_b32_e32 v31, 0x3f0, v31
	v_add_u32_e32 v31, s0, v31
	ds_read_b128 v[55:58], v31 offset:1024
	v_add_u32_e32 v100, v101, v38
	v_add_u32_e32 v99, v100, v38
	v_fma_f64 v[51:52], v[12:13], v[24:25], -v[18:19]
	v_fma_f64 v[53:54], v[14:15], v[24:25], v[26:27]
	s_waitcnt lgkmcnt(0)
	v_mul_f64 v[31:32], v[45:46], v[57:58]
	v_mul_f64 v[18:19], v[43:44], v[57:58]
	v_lshrrev_b32_e32 v24, 2, v100
	v_and_b32_e32 v12, 63, v100
	v_and_b32_e32 v24, 0x3f0, v24
	v_lshl_add_u32 v12, v12, 4, 0
	v_add_u32_e32 v24, s0, v24
	ds_read_b128 v[12:15], v12 offset:9600
	ds_read_b128 v[24:27], v24 offset:1024
	v_fma_f64 v[47:48], v[43:44], v[55:56], -v[31:32]
	v_fma_f64 v[49:50], v[45:46], v[55:56], v[18:19]
	v_or_b32_e32 v96, 0x50, v87
	v_mul_lo_u32 v106, v96, v42
	s_waitcnt lgkmcnt(0)
	v_mul_f64 v[18:19], v[14:15], v[26:27]
	v_mul_f64 v[31:32], v[12:13], v[26:27]
	v_and_b32_e32 v26, 63, v99
	v_lshl_add_u32 v26, v26, 4, 0
	ds_read_b128 v[55:58], v26 offset:9600
	v_lshrrev_b32_e32 v26, 2, v99
	v_and_b32_e32 v26, 0x3f0, v26
	v_add_u32_e32 v26, s0, v26
	ds_read_b128 v[59:62], v26 offset:1024
	v_fma_f64 v[26:27], v[12:13], v[24:25], -v[18:19]
	v_fma_f64 v[45:46], v[14:15], v[24:25], v[31:32]
	v_and_b32_e32 v18, 63, v97
	v_lshl_add_u32 v18, v18, 4, 0
	s_waitcnt lgkmcnt(0)
	v_mul_f64 v[12:13], v[57:58], v[61:62]
	v_mul_f64 v[14:15], v[55:56], v[61:62]
	v_add_u32_e32 v104, v106, v38
	v_add_u32_e32 v103, v104, v38
	;; [unrolled: 1-line block ×3, first 2 shown]
	v_mul_lo_u32 v42, v87, v42
	v_fma_f64 v[12:13], v[55:56], v[59:60], -v[12:13]
	v_fma_f64 v[14:15], v[57:58], v[59:60], v[14:15]
	ds_read_b128 v[55:58], v18 offset:9600
	v_lshrrev_b32_e32 v18, 2, v97
	v_and_b32_e32 v18, 0x3f0, v18
	v_add_u32_e32 v18, s0, v18
	ds_read_b128 v[59:62], v18 offset:1024
	s_waitcnt lgkmcnt(0)
	v_mul_f64 v[18:19], v[57:58], v[61:62]
	v_mul_f64 v[24:25], v[55:56], v[61:62]
	v_fma_f64 v[18:19], v[55:56], v[59:60], -v[18:19]
	v_fma_f64 v[24:25], v[57:58], v[59:60], v[24:25]
	global_load_dwordx4 v[55:58], v105, s[14:15] offset:208
	ds_read2_b64 v[59:62], v30 offset0:64 offset1:184
	s_waitcnt vmcnt(0)
	v_mul_f64 v[31:32], v[4:5], v[57:58]
	s_waitcnt lgkmcnt(0)
	v_fma_f64 v[30:31], v[59:60], v[55:56], -v[31:32]
	v_mul_f64 v[32:33], v[59:60], v[57:58]
	v_fma_f64 v[32:33], v[4:5], v[55:56], v[32:33]
	v_lshlrev_b64 v[4:5], 4, v[34:35]
	v_mov_b32_e32 v35, s15
	v_add_co_u32_e32 v34, vcc, s14, v4
	v_addc_co_u32_e32 v35, vcc, v35, v5, vcc
	global_load_dwordx4 v[55:58], v[34:35], off offset:208
	s_waitcnt vmcnt(0)
	v_mul_f64 v[4:5], v[6:7], v[57:58]
	v_fma_f64 v[71:72], v[61:62], v[55:56], -v[4:5]
	v_mul_f64 v[4:5], v[61:62], v[57:58]
	v_fma_f64 v[73:74], v[6:7], v[55:56], v[4:5]
	global_load_dwordx4 v[4:7], v[34:35], off offset:160
	ds_read2_b64 v[55:58], v37 offset0:8 offset1:248
	s_waitcnt vmcnt(0)
	v_mul_f64 v[43:44], v[8:9], v[6:7]
	s_waitcnt lgkmcnt(0)
	v_mul_f64 v[6:7], v[55:56], v[6:7]
	v_fma_f64 v[75:76], v[55:56], v[4:5], -v[43:44]
	v_fma_f64 v[79:80], v[8:9], v[4:5], v[6:7]
	global_load_dwordx4 v[4:7], v[34:35], off offset:176
	v_add_f64 v[113:114], v[75:76], -v[71:72]
	v_add_f64 v[117:118], v[79:80], -v[73:74]
	s_waitcnt vmcnt(0)
	v_mul_f64 v[8:9], v[10:11], v[6:7]
	v_mul_f64 v[6:7], v[57:58], v[6:7]
	v_fma_f64 v[77:78], v[57:58], v[4:5], -v[8:9]
	v_fma_f64 v[81:82], v[10:11], v[4:5], v[6:7]
	global_load_dwordx4 v[4:7], v[34:35], off offset:192
	ds_read2_b64 v[8:11], v36 offset0:80 offset1:200
	s_waitcnt vmcnt(0)
	v_mul_f64 v[34:35], v[2:3], v[6:7]
	s_waitcnt lgkmcnt(0)
	v_mul_f64 v[6:7], v[10:11], v[6:7]
	v_fma_f64 v[83:84], v[10:11], v[4:5], -v[34:35]
	v_fma_f64 v[85:86], v[2:3], v[4:5], v[6:7]
	global_load_dwordx4 v[2:5], v105, s[14:15] offset:192
	v_add_f64 v[115:116], v[77:78], -v[83:84]
	v_add_f64 v[119:120], v[81:82], -v[85:86]
	;; [unrolled: 1-line block ×3, first 2 shown]
	s_waitcnt vmcnt(0)
	v_mul_f64 v[6:7], v[0:1], v[4:5]
	v_mul_f64 v[4:5], v[8:9], v[4:5]
	v_fma_f64 v[34:35], v[8:9], v[2:3], -v[6:7]
	v_fma_f64 v[43:44], v[0:1], v[2:3], v[4:5]
	v_lshrrev_b32_e32 v1, 2, v106
	v_and_b32_e32 v0, 63, v106
	v_and_b32_e32 v1, 0x3f0, v1
	v_lshl_add_u32 v0, v0, 4, 0
	v_add_u32_e32 v4, s0, v1
	ds_read_b128 v[0:3], v0 offset:9600
	ds_read_b128 v[4:7], v4 offset:1024
	s_waitcnt lgkmcnt(0)
	v_mul_f64 v[8:9], v[2:3], v[6:7]
	v_fma_f64 v[67:68], v[0:1], v[4:5], -v[8:9]
	v_mul_f64 v[0:1], v[0:1], v[6:7]
	v_fma_f64 v[69:70], v[2:3], v[4:5], v[0:1]
	v_lshrrev_b32_e32 v1, 2, v104
	v_and_b32_e32 v0, 63, v104
	v_and_b32_e32 v1, 0x3f0, v1
	v_lshl_add_u32 v0, v0, 4, 0
	v_add_u32_e32 v4, s0, v1
	ds_read_b128 v[0:3], v0 offset:9600
	ds_read_b128 v[4:7], v4 offset:1024
	s_waitcnt lgkmcnt(0)
	v_mul_f64 v[8:9], v[2:3], v[6:7]
	v_fma_f64 v[63:64], v[0:1], v[4:5], -v[8:9]
	v_mul_f64 v[0:1], v[0:1], v[6:7]
	;; [unrolled: 12-line block ×4, first 2 shown]
	v_fma_f64 v[59:60], v[2:3], v[4:5], v[0:1]
	v_lshrrev_b32_e32 v1, 2, v42
	v_and_b32_e32 v0, 63, v42
	v_and_b32_e32 v1, 0x3f0, v1
	v_lshl_add_u32 v0, v0, 4, 0
	v_add_u32_e32 v4, s0, v1
	ds_read_b128 v[0:3], v0 offset:9600
	ds_read_b128 v[4:7], v4 offset:1024
	ds_read_b64 v[107:108], v95
	v_lshrrev_b32_e32 v42, 8, v42
	v_and_b32_e32 v42, 0x3f0, v42
	v_add_u32_e32 v42, s0, v42
	s_waitcnt lgkmcnt(1)
	v_mul_f64 v[8:9], v[2:3], v[6:7]
	v_fma_f64 v[36:37], v[0:1], v[4:5], -v[8:9]
	v_mul_f64 v[0:1], v[0:1], v[6:7]
	v_add_f64 v[6:7], v[71:72], -v[83:84]
	v_fma_f64 v[38:39], v[2:3], v[4:5], v[0:1]
	v_lshrrev_b32_e32 v0, 8, v98
	v_and_b32_e32 v0, 0x3f0, v0
	v_add_u32_e32 v0, s0, v0
	ds_read_b128 v[0:3], v0 offset:2048
	s_waitcnt lgkmcnt(0)
	v_mul_f64 v[4:5], v[53:54], v[2:3]
	v_mul_f64 v[2:3], v[51:52], v[2:3]
	v_fma_f64 v[4:5], v[0:1], v[51:52], -v[4:5]
	v_fma_f64 v[0:1], v[0:1], v[53:54], v[2:3]
	v_add_f64 v[2:3], v[75:76], -v[77:78]
	v_add_f64 v[51:52], v[2:3], v[6:7]
	v_add_f64 v[2:3], v[79:80], -v[81:82]
	v_add_f64 v[6:7], v[73:74], -v[85:86]
	v_add_f64 v[53:54], v[2:3], v[6:7]
	v_add_f64 v[2:3], v[77:78], v[83:84]
	v_fma_f64 v[109:110], v[2:3], -0.5, v[107:108]
	v_add_f64 v[2:3], v[81:82], v[85:86]
	v_fma_f64 v[6:7], v[117:118], s[10:11], v[109:110]
	v_fma_f64 v[111:112], v[2:3], -0.5, v[16:17]
	v_fma_f64 v[6:7], v[119:120], s[20:21], v[6:7]
	v_fma_f64 v[2:3], v[113:114], s[16:17], v[111:112]
	;; [unrolled: 1-line block ×5, first 2 shown]
	v_mul_f64 v[6:7], v[8:9], v[0:1]
	v_mul_f64 v[0:1], v[2:3], v[0:1]
	v_fma_f64 v[2:3], v[2:3], v[4:5], -v[6:7]
	v_fma_f64 v[0:1], v[8:9], v[4:5], v[0:1]
	v_lshrrev_b32_e32 v4, 8, v101
	v_and_b32_e32 v4, 0x3f0, v4
	v_add_u32_e32 v4, s0, v4
	ds_read_b128 v[4:7], v4 offset:2048
	s_waitcnt lgkmcnt(0)
	v_mul_f64 v[8:9], v[49:50], v[6:7]
	v_mul_f64 v[6:7], v[47:48], v[6:7]
	v_fma_f64 v[8:9], v[4:5], v[47:48], -v[8:9]
	v_fma_f64 v[4:5], v[4:5], v[49:50], v[6:7]
	v_add_f64 v[6:7], v[77:78], -v[75:76]
	v_add_f64 v[47:48], v[6:7], v[10:11]
	v_add_f64 v[6:7], v[81:82], -v[79:80]
	v_add_f64 v[10:11], v[85:86], -v[73:74]
	v_add_f64 v[49:50], v[6:7], v[10:11]
	v_add_f64 v[6:7], v[79:80], v[73:74]
	v_fma_f64 v[121:122], v[6:7], -0.5, v[16:17]
	v_add_f64 v[6:7], v[75:76], v[71:72]
	v_add_f64 v[16:17], v[16:17], v[79:80]
	v_fma_f64 v[123:124], v[6:7], -0.5, v[107:108]
	v_fma_f64 v[6:7], v[115:116], s[10:11], v[121:122]
	v_add_f64 v[16:17], v[16:17], v[81:82]
	v_fma_f64 v[10:11], v[119:120], s[16:17], v[123:124]
	v_fma_f64 v[6:7], v[113:114], s[18:19], v[6:7]
	v_add_f64 v[16:17], v[16:17], v[85:86]
	v_fma_f64 v[10:11], v[117:118], s[20:21], v[10:11]
	;; [unrolled: 3-line block ×3, first 2 shown]
	v_mul_f64 v[10:11], v[125:126], v[4:5]
	v_mul_f64 v[4:5], v[6:7], v[4:5]
	v_fma_f64 v[6:7], v[6:7], v[8:9], -v[10:11]
	v_fma_f64 v[4:5], v[125:126], v[8:9], v[4:5]
	v_lshrrev_b32_e32 v8, 8, v100
	v_and_b32_e32 v8, 0x3f0, v8
	v_add_u32_e32 v8, s0, v8
	ds_read_b128 v[8:11], v8 offset:2048
	s_waitcnt lgkmcnt(0)
	v_mul_f64 v[100:101], v[45:46], v[10:11]
	v_mul_f64 v[10:11], v[26:27], v[10:11]
	v_fma_f64 v[100:101], v[8:9], v[26:27], -v[100:101]
	v_fma_f64 v[8:9], v[8:9], v[45:46], v[10:11]
	v_fma_f64 v[10:11], v[115:116], s[16:17], v[121:122]
	;; [unrolled: 1-line block ×5, first 2 shown]
	v_add_f64 v[49:50], v[34:35], -v[30:31]
	v_mul_f64 v[45:46], v[26:27], v[8:9]
	v_fma_f64 v[10:11], v[117:118], s[18:19], v[10:11]
	v_fma_f64 v[10:11], v[47:48], s[8:9], v[10:11]
	v_mul_f64 v[8:9], v[10:11], v[8:9]
	v_fma_f64 v[10:11], v[10:11], v[100:101], -v[45:46]
	v_fma_f64 v[8:9], v[26:27], v[100:101], v[8:9]
	v_lshrrev_b32_e32 v26, 8, v99
	v_and_b32_e32 v26, 0x3f0, v26
	v_add_u32_e32 v26, s0, v26
	ds_read_b128 v[45:48], v26 offset:2048
	s_waitcnt lgkmcnt(0)
	v_mul_f64 v[26:27], v[14:15], v[47:48]
	v_fma_f64 v[26:27], v[45:46], v[12:13], -v[26:27]
	v_mul_f64 v[12:13], v[12:13], v[47:48]
	v_fma_f64 v[12:13], v[45:46], v[14:15], v[12:13]
	v_fma_f64 v[14:15], v[113:114], s[10:11], v[111:112]
	;; [unrolled: 1-line block ×7, first 2 shown]
	v_mul_f64 v[45:46], v[47:48], v[12:13]
	v_mul_f64 v[12:13], v[14:15], v[12:13]
	v_fma_f64 v[14:15], v[14:15], v[26:27], -v[45:46]
	v_fma_f64 v[12:13], v[47:48], v[26:27], v[12:13]
	v_lshrrev_b32_e32 v26, 8, v97
	v_and_b32_e32 v26, 0x3f0, v26
	v_add_u32_e32 v26, s0, v26
	ds_read_b128 v[45:48], v26 offset:2048
	s_waitcnt lgkmcnt(0)
	v_mul_f64 v[26:27], v[24:25], v[47:48]
	v_fma_f64 v[26:27], v[45:46], v[18:19], -v[26:27]
	v_mul_f64 v[18:19], v[18:19], v[47:48]
	v_fma_f64 v[18:19], v[45:46], v[24:25], v[18:19]
	v_add_f64 v[24:25], v[107:108], v[75:76]
	v_mul_f64 v[45:46], v[16:17], v[18:19]
	v_add_f64 v[24:25], v[24:25], v[77:78]
	v_add_f64 v[24:25], v[24:25], v[83:84]
	;; [unrolled: 1-line block ×3, first 2 shown]
	v_mul_f64 v[47:48], v[24:25], v[18:19]
	v_fma_f64 v[18:19], v[24:25], v[26:27], -v[45:46]
	ds_read_b64 v[45:46], v93
	v_fma_f64 v[16:17], v[16:17], v[26:27], v[47:48]
	global_load_dwordx4 v[24:27], v105, s[14:15] offset:160
	s_waitcnt vmcnt(0)
	v_mul_f64 v[47:48], v[22:23], v[26:27]
	s_waitcnt lgkmcnt(0)
	v_mul_f64 v[26:27], v[45:46], v[26:27]
	v_fma_f64 v[51:52], v[45:46], v[24:25], -v[47:48]
	v_fma_f64 v[53:54], v[22:23], v[24:25], v[26:27]
	global_load_dwordx4 v[22:25], v105, s[14:15] offset:176
	ds_read_b64 v[26:27], v94
	v_add_f64 v[79:80], v[51:52], -v[30:31]
	v_add_f64 v[83:84], v[53:54], -v[32:33]
	s_waitcnt vmcnt(0)
	v_mul_f64 v[45:46], v[20:21], v[24:25]
	s_waitcnt lgkmcnt(0)
	v_mul_f64 v[24:25], v[26:27], v[24:25]
	v_fma_f64 v[71:72], v[26:27], v[22:23], -v[45:46]
	v_fma_f64 v[73:74], v[20:21], v[22:23], v[24:25]
	v_lshrrev_b32_e32 v20, 8, v106
	v_and_b32_e32 v20, 0x3f0, v20
	v_add_u32_e32 v20, s0, v20
	ds_read_b128 v[20:23], v20 offset:2048
	v_add_f64 v[26:27], v[30:31], -v[34:35]
	v_add_f64 v[81:82], v[71:72], -v[34:35]
	v_add_f64 v[85:86], v[73:74], -v[43:44]
	s_waitcnt lgkmcnt(0)
	v_mul_f64 v[24:25], v[69:70], v[22:23]
	v_mul_f64 v[22:23], v[67:68], v[22:23]
	v_fma_f64 v[24:25], v[20:21], v[67:68], -v[24:25]
	v_fma_f64 v[20:21], v[20:21], v[69:70], v[22:23]
	v_add_f64 v[22:23], v[51:52], -v[71:72]
	ds_read_b64 v[69:70], v92
	v_add_f64 v[45:46], v[22:23], v[26:27]
	v_add_f64 v[22:23], v[53:54], -v[73:74]
	v_add_f64 v[26:27], v[32:33], -v[43:44]
	v_add_f64 v[67:68], v[22:23], v[26:27]
	v_add_f64 v[22:23], v[71:72], v[34:35]
	s_waitcnt lgkmcnt(0)
	v_fma_f64 v[75:76], v[22:23], -0.5, v[69:70]
	v_add_f64 v[22:23], v[73:74], v[43:44]
	v_fma_f64 v[26:27], v[83:84], s[10:11], v[75:76]
	v_fma_f64 v[77:78], v[22:23], -0.5, v[28:29]
	v_fma_f64 v[26:27], v[85:86], s[20:21], v[26:27]
	v_fma_f64 v[22:23], v[79:80], s[16:17], v[77:78]
	;; [unrolled: 1-line block ×5, first 2 shown]
	v_mul_f64 v[26:27], v[47:48], v[20:21]
	v_mul_f64 v[20:21], v[22:23], v[20:21]
	v_fma_f64 v[22:23], v[22:23], v[24:25], -v[26:27]
	v_fma_f64 v[20:21], v[47:48], v[24:25], v[20:21]
	v_lshrrev_b32_e32 v24, 8, v104
	v_and_b32_e32 v24, 0x3f0, v24
	v_add_u32_e32 v24, s0, v24
	ds_read_b128 v[24:27], v24 offset:2048
	s_waitcnt lgkmcnt(0)
	v_mul_f64 v[47:48], v[65:66], v[26:27]
	v_mul_f64 v[26:27], v[63:64], v[26:27]
	v_fma_f64 v[47:48], v[24:25], v[63:64], -v[47:48]
	v_fma_f64 v[24:25], v[24:25], v[65:66], v[26:27]
	v_add_f64 v[26:27], v[71:72], -v[51:52]
	v_add_f64 v[63:64], v[26:27], v[49:50]
	v_add_f64 v[26:27], v[73:74], -v[53:54]
	v_add_f64 v[49:50], v[43:44], -v[32:33]
	v_add_f64 v[65:66], v[26:27], v[49:50]
	v_add_f64 v[26:27], v[53:54], v[32:33]
	v_fma_f64 v[92:93], v[26:27], -0.5, v[28:29]
	v_add_f64 v[26:27], v[51:52], v[30:31]
	v_add_f64 v[28:29], v[28:29], v[53:54]
	;; [unrolled: 1-line block ×3, first 2 shown]
	v_fma_f64 v[94:95], v[26:27], -0.5, v[69:70]
	v_fma_f64 v[26:27], v[81:82], s[10:11], v[92:93]
	v_add_f64 v[28:29], v[28:29], v[73:74]
	v_add_f64 v[51:52], v[51:52], v[71:72]
	v_fma_f64 v[49:50], v[85:86], s[16:17], v[94:95]
	v_fma_f64 v[26:27], v[79:80], s[18:19], v[26:27]
	;; [unrolled: 1-line block ×3, first 2 shown]
	v_add_f64 v[28:29], v[28:29], v[43:44]
	v_add_f64 v[34:35], v[51:52], v[34:35]
	v_fma_f64 v[49:50], v[83:84], s[20:21], v[49:50]
	v_fma_f64 v[97:98], v[65:66], s[8:9], v[26:27]
	;; [unrolled: 1-line block ×3, first 2 shown]
	v_add_f64 v[28:29], v[28:29], v[32:33]
	v_add_f64 v[34:35], v[34:35], v[30:31]
	v_fma_f64 v[26:27], v[63:64], s[8:9], v[49:50]
	v_mul_f64 v[49:50], v[97:98], v[24:25]
	v_fma_f64 v[53:54], v[63:64], s[8:9], v[53:54]
	v_mul_f64 v[24:25], v[26:27], v[24:25]
	v_fma_f64 v[26:27], v[26:27], v[47:48], -v[49:50]
	v_fma_f64 v[24:25], v[97:98], v[47:48], v[24:25]
	v_lshrrev_b32_e32 v47, 8, v103
	v_and_b32_e32 v47, 0x3f0, v47
	v_add_u32_e32 v47, s0, v47
	ds_read_b128 v[47:50], v47 offset:2048
	s_waitcnt lgkmcnt(0)
	v_mul_f64 v[97:98], v[61:62], v[49:50]
	v_mul_f64 v[49:50], v[57:58], v[49:50]
	v_fma_f64 v[97:98], v[47:48], v[57:58], -v[97:98]
	v_fma_f64 v[57:58], v[47:48], v[61:62], v[49:50]
	v_lshrrev_b32_e32 v47, 8, v102
	v_and_b32_e32 v47, 0x3f0, v47
	v_add_u32_e32 v47, s0, v47
	ds_read_b128 v[47:50], v47 offset:2048
	s_movk_i32 s0, 0x50
	s_waitcnt lgkmcnt(0)
	v_mul_f64 v[61:62], v[59:60], v[49:50]
	v_mul_f64 v[49:50], v[55:56], v[49:50]
	v_fma_f64 v[61:62], v[47:48], v[55:56], -v[61:62]
	v_fma_f64 v[55:56], v[47:48], v[59:60], v[49:50]
	v_fma_f64 v[47:48], v[81:82], s[16:17], v[92:93]
	;; [unrolled: 1-line block ×9, first 2 shown]
	ds_read_b128 v[47:50], v42 offset:2048
	v_fma_f64 v[42:43], v[45:46], s[8:9], v[59:60]
	s_waitcnt lgkmcnt(0)
	v_mul_f64 v[44:45], v[36:37], v[49:50]
	v_mul_f64 v[51:52], v[63:64], v[57:58]
	;; [unrolled: 1-line block ×5, first 2 shown]
	v_fma_f64 v[67:68], v[47:48], v[38:39], v[44:45]
	v_mul_f64 v[38:39], v[38:39], v[49:50]
	v_fma_f64 v[32:33], v[53:54], v[97:98], -v[51:52]
	v_mad_u64_u32 v[50:51], s[8:9], s2, v87, 0
	v_fma_f64 v[30:31], v[63:64], v[97:98], v[57:58]
	v_fma_f64 v[44:45], v[42:43], v[61:62], -v[59:60]
	v_fma_f64 v[42:43], v[65:66], v[61:62], v[55:56]
	v_fma_f64 v[38:39], v[47:48], v[36:37], -v[38:39]
	v_mul_f64 v[48:49], v[34:35], v[67:68]
	v_mad_u64_u32 v[46:47], s[8:9], s4, v88, 0
	v_mul_f64 v[36:37], v[28:29], v[67:68]
	v_mad_u64_u32 v[52:53], s[4:5], s5, v88, v[47:48]
	v_mov_b32_e32 v47, v51
	v_mad_u64_u32 v[53:54], s[4:5], s3, v87, v[47:48]
	v_mov_b32_e32 v47, v52
	s_lshl_b64 s[4:5], s[6:7], 4
	v_fma_f64 v[36:37], v[34:35], v[38:39], -v[36:37]
	v_fma_f64 v[34:35], v[28:29], v[38:39], v[48:49]
	s_add_u32 s1, s12, s4
	v_lshlrev_b64 v[28:29], 4, v[46:47]
	s_addc_u32 s4, s13, s5
	v_add_co_u32_e32 v48, vcc, s1, v28
	v_mov_b32_e32 v28, s4
	v_mov_b32_e32 v51, v53
	v_addc_co_u32_e32 v49, vcc, v28, v29, vcc
	v_mad_u64_u32 v[28:29], s[4:5], s2, v91, 0
	v_lshlrev_b64 v[38:39], 4, v[50:51]
	v_add_co_u32_e32 v38, vcc, v48, v38
	v_mad_u64_u32 v[46:47], s[4:5], s3, v91, v[29:30]
	v_addc_co_u32_e32 v39, vcc, v49, v39, vcc
	global_store_dwordx4 v[38:39], v[34:37], off
	v_mov_b32_e32 v29, v46
	v_mad_u64_u32 v[34:35], s[4:5], s2, v90, 0
	v_lshlrev_b64 v[28:29], 4, v[28:29]
	v_mad_u64_u32 v[35:36], s[4:5], s3, v90, v[35:36]
	v_add_co_u32_e32 v28, vcc, v48, v28
	v_addc_co_u32_e32 v29, vcc, v49, v29, vcc
	global_store_dwordx4 v[28:29], v[42:45], off
	v_mad_u64_u32 v[28:29], s[4:5], s2, v89, 0
	v_lshlrev_b64 v[34:35], 4, v[34:35]
	v_add_co_u32_e32 v34, vcc, v48, v34
	v_addc_co_u32_e32 v35, vcc, v49, v35, vcc
	v_mad_u64_u32 v[36:37], s[4:5], s3, v89, v[29:30]
	global_store_dwordx4 v[34:35], v[30:33], off
	v_mov_b32_e32 v29, v36
	v_mad_u64_u32 v[30:31], s[4:5], s2, v96, 0
	v_lshlrev_b64 v[28:29], 4, v[28:29]
	v_mad_u64_u32 v[31:32], s[4:5], s3, v96, v[31:32]
	v_mad_u64_u32 v[32:33], s[0:1], v40, s0, v[41:42]
	v_add_co_u32_e32 v28, vcc, v48, v28
	v_addc_co_u32_e32 v29, vcc, v49, v29, vcc
	global_store_dwordx4 v[28:29], v[24:27], off
	s_nop 0
	v_mad_u64_u32 v[24:25], s[0:1], s2, v32, 0
	v_lshlrev_b64 v[26:27], 4, v[30:31]
	v_add_co_u32_e32 v26, vcc, v48, v26
	v_mad_u64_u32 v[28:29], s[0:1], s3, v32, v[25:26]
	v_addc_co_u32_e32 v27, vcc, v49, v27, vcc
	global_store_dwordx4 v[26:27], v[20:23], off
	v_add_u32_e32 v26, 20, v32
	v_mov_b32_e32 v25, v28
	v_mad_u64_u32 v[20:21], s[0:1], s2, v26, 0
	v_lshlrev_b64 v[22:23], 4, v[24:25]
	v_add_co_u32_e32 v22, vcc, v48, v22
	v_mad_u64_u32 v[24:25], s[0:1], s3, v26, v[21:22]
	v_addc_co_u32_e32 v23, vcc, v49, v23, vcc
	global_store_dwordx4 v[22:23], v[16:19], off
	v_add_u32_e32 v22, 40, v32
	v_mov_b32_e32 v21, v24
	;; [unrolled: 8-line block ×4, first 2 shown]
	v_mad_u64_u32 v[8:9], s[0:1], s2, v14, 0
	v_lshlrev_b64 v[10:11], 4, v[12:13]
	v_add_co_u32_e32 v10, vcc, v48, v10
	v_mad_u64_u32 v[12:13], s[0:1], s3, v14, v[9:10]
	v_addc_co_u32_e32 v11, vcc, v49, v11, vcc
	v_mov_b32_e32 v9, v12
	global_store_dwordx4 v[10:11], v[4:7], off
	s_nop 0
	v_lshlrev_b64 v[4:5], 4, v[8:9]
	v_add_co_u32_e32 v4, vcc, v48, v4
	v_addc_co_u32_e32 v5, vcc, v49, v5, vcc
	global_store_dwordx4 v[4:5], v[0:3], off
.LBB0_20:
	s_endpgm
	.section	.rodata,"a",@progbits
	.p2align	6, 0x0
	.amdhsa_kernel fft_rtc_back_len100_factors_10_2_5_wgs_120_tpt_10_halfLds_dim3_dp_ip_CI_sbcc_twdbase6_3step_dirReg
		.amdhsa_group_segment_fixed_size 0
		.amdhsa_private_segment_fixed_size 0
		.amdhsa_kernarg_size 88
		.amdhsa_user_sgpr_count 6
		.amdhsa_user_sgpr_private_segment_buffer 1
		.amdhsa_user_sgpr_dispatch_ptr 0
		.amdhsa_user_sgpr_queue_ptr 0
		.amdhsa_user_sgpr_kernarg_segment_ptr 1
		.amdhsa_user_sgpr_dispatch_id 0
		.amdhsa_user_sgpr_flat_scratch_init 0
		.amdhsa_user_sgpr_private_segment_size 0
		.amdhsa_uses_dynamic_stack 0
		.amdhsa_system_sgpr_private_segment_wavefront_offset 0
		.amdhsa_system_sgpr_workgroup_id_x 1
		.amdhsa_system_sgpr_workgroup_id_y 0
		.amdhsa_system_sgpr_workgroup_id_z 0
		.amdhsa_system_sgpr_workgroup_info 0
		.amdhsa_system_vgpr_workitem_id 0
		.amdhsa_next_free_vgpr 127
		.amdhsa_next_free_sgpr 30
		.amdhsa_reserve_vcc 1
		.amdhsa_reserve_flat_scratch 0
		.amdhsa_float_round_mode_32 0
		.amdhsa_float_round_mode_16_64 0
		.amdhsa_float_denorm_mode_32 3
		.amdhsa_float_denorm_mode_16_64 3
		.amdhsa_dx10_clamp 1
		.amdhsa_ieee_mode 1
		.amdhsa_fp16_overflow 0
		.amdhsa_exception_fp_ieee_invalid_op 0
		.amdhsa_exception_fp_denorm_src 0
		.amdhsa_exception_fp_ieee_div_zero 0
		.amdhsa_exception_fp_ieee_overflow 0
		.amdhsa_exception_fp_ieee_underflow 0
		.amdhsa_exception_fp_ieee_inexact 0
		.amdhsa_exception_int_div_zero 0
	.end_amdhsa_kernel
	.text
.Lfunc_end0:
	.size	fft_rtc_back_len100_factors_10_2_5_wgs_120_tpt_10_halfLds_dim3_dp_ip_CI_sbcc_twdbase6_3step_dirReg, .Lfunc_end0-fft_rtc_back_len100_factors_10_2_5_wgs_120_tpt_10_halfLds_dim3_dp_ip_CI_sbcc_twdbase6_3step_dirReg
                                        ; -- End function
	.section	.AMDGPU.csdata,"",@progbits
; Kernel info:
; codeLenInByte = 8636
; NumSgprs: 34
; NumVgprs: 127
; ScratchSize: 0
; MemoryBound: 1
; FloatMode: 240
; IeeeMode: 1
; LDSByteSize: 0 bytes/workgroup (compile time only)
; SGPRBlocks: 4
; VGPRBlocks: 31
; NumSGPRsForWavesPerEU: 34
; NumVGPRsForWavesPerEU: 127
; Occupancy: 2
; WaveLimiterHint : 1
; COMPUTE_PGM_RSRC2:SCRATCH_EN: 0
; COMPUTE_PGM_RSRC2:USER_SGPR: 6
; COMPUTE_PGM_RSRC2:TRAP_HANDLER: 0
; COMPUTE_PGM_RSRC2:TGID_X_EN: 1
; COMPUTE_PGM_RSRC2:TGID_Y_EN: 0
; COMPUTE_PGM_RSRC2:TGID_Z_EN: 0
; COMPUTE_PGM_RSRC2:TIDIG_COMP_CNT: 0
	.type	__hip_cuid_e85093e440b3c7a1,@object ; @__hip_cuid_e85093e440b3c7a1
	.section	.bss,"aw",@nobits
	.globl	__hip_cuid_e85093e440b3c7a1
__hip_cuid_e85093e440b3c7a1:
	.byte	0                               ; 0x0
	.size	__hip_cuid_e85093e440b3c7a1, 1

	.ident	"AMD clang version 19.0.0git (https://github.com/RadeonOpenCompute/llvm-project roc-6.4.0 25133 c7fe45cf4b819c5991fe208aaa96edf142730f1d)"
	.section	".note.GNU-stack","",@progbits
	.addrsig
	.addrsig_sym __hip_cuid_e85093e440b3c7a1
	.amdgpu_metadata
---
amdhsa.kernels:
  - .args:
      - .actual_access:  read_only
        .address_space:  global
        .offset:         0
        .size:           8
        .value_kind:     global_buffer
      - .address_space:  global
        .offset:         8
        .size:           8
        .value_kind:     global_buffer
      - .actual_access:  read_only
        .address_space:  global
        .offset:         16
        .size:           8
        .value_kind:     global_buffer
      - .actual_access:  read_only
        .address_space:  global
        .offset:         24
        .size:           8
        .value_kind:     global_buffer
      - .offset:         32
        .size:           8
        .value_kind:     by_value
      - .actual_access:  read_only
        .address_space:  global
        .offset:         40
        .size:           8
        .value_kind:     global_buffer
      - .actual_access:  read_only
        .address_space:  global
        .offset:         48
        .size:           8
        .value_kind:     global_buffer
      - .offset:         56
        .size:           4
        .value_kind:     by_value
      - .actual_access:  read_only
        .address_space:  global
        .offset:         64
        .size:           8
        .value_kind:     global_buffer
      - .actual_access:  read_only
        .address_space:  global
        .offset:         72
        .size:           8
        .value_kind:     global_buffer
      - .address_space:  global
        .offset:         80
        .size:           8
        .value_kind:     global_buffer
    .group_segment_fixed_size: 0
    .kernarg_segment_align: 8
    .kernarg_segment_size: 88
    .language:       OpenCL C
    .language_version:
      - 2
      - 0
    .max_flat_workgroup_size: 120
    .name:           fft_rtc_back_len100_factors_10_2_5_wgs_120_tpt_10_halfLds_dim3_dp_ip_CI_sbcc_twdbase6_3step_dirReg
    .private_segment_fixed_size: 0
    .sgpr_count:     34
    .sgpr_spill_count: 0
    .symbol:         fft_rtc_back_len100_factors_10_2_5_wgs_120_tpt_10_halfLds_dim3_dp_ip_CI_sbcc_twdbase6_3step_dirReg.kd
    .uniform_work_group_size: 1
    .uses_dynamic_stack: false
    .vgpr_count:     127
    .vgpr_spill_count: 0
    .wavefront_size: 64
amdhsa.target:   amdgcn-amd-amdhsa--gfx906
amdhsa.version:
  - 1
  - 2
...

	.end_amdgpu_metadata
